;; amdgpu-corpus repo=zjin-lcf/HeCBench kind=compiled arch=gfx1250 opt=O3
	.amdgcn_target "amdgcn-amd-amdhsa--gfx1250"
	.amdhsa_code_object_version 6
	.section	.text._ZN4tsne5utils21BroadcastColumnVectorIN6thrust23THRUST_200600_302600_NS7dividesIfEEfEEvPT0_PKS6_iiT_S6_,"axG",@progbits,_ZN4tsne5utils21BroadcastColumnVectorIN6thrust23THRUST_200600_302600_NS7dividesIfEEfEEvPT0_PKS6_iiT_S6_,comdat
	.protected	_ZN4tsne5utils21BroadcastColumnVectorIN6thrust23THRUST_200600_302600_NS7dividesIfEEfEEvPT0_PKS6_iiT_S6_ ; -- Begin function _ZN4tsne5utils21BroadcastColumnVectorIN6thrust23THRUST_200600_302600_NS7dividesIfEEfEEvPT0_PKS6_iiT_S6_
	.globl	_ZN4tsne5utils21BroadcastColumnVectorIN6thrust23THRUST_200600_302600_NS7dividesIfEEfEEvPT0_PKS6_iiT_S6_
	.p2align	8
	.type	_ZN4tsne5utils21BroadcastColumnVectorIN6thrust23THRUST_200600_302600_NS7dividesIfEEfEEvPT0_PKS6_iiT_S6_,@function
_ZN4tsne5utils21BroadcastColumnVectorIN6thrust23THRUST_200600_302600_NS7dividesIfEEfEEvPT0_PKS6_iiT_S6_: ; @_ZN4tsne5utils21BroadcastColumnVectorIN6thrust23THRUST_200600_302600_NS7dividesIfEEfEEvPT0_PKS6_iiT_S6_
; %bb.0:
	s_clause 0x1
	s_load_b32 s4, s[0:1], 0x2c
	s_load_b64 s[2:3], s[0:1], 0x10
	s_bfe_u32 s5, ttmp6, 0x4000c
	s_and_b32 s6, ttmp6, 15
	s_add_co_i32 s5, s5, 1
	s_getreg_b32 s7, hwreg(HW_REG_IB_STS2, 6, 4)
	s_mul_i32 s5, ttmp9, s5
	s_delay_alu instid0(SALU_CYCLE_1)
	s_add_co_i32 s6, s6, s5
	s_wait_kmcnt 0x0
	s_and_b32 s4, s4, 0xffff
	s_cmp_eq_u32 s7, 0
	s_cselect_b32 s5, ttmp9, s6
	s_abs_i32 s6, s2
	v_mad_u32 v0, s5, s4, v0
	s_cvt_f32_u32 s7, s6
	s_sub_co_i32 s5, 0, s6
	s_delay_alu instid0(SALU_CYCLE_2) | instskip(SKIP_1) | instid1(TRANS32_DEP_1)
	v_rcp_iflag_f32_e32 v1, s7
	v_nop
	v_readfirstlane_b32 s4, v1
	s_delay_alu instid0(VALU_DEP_3) | instskip(SKIP_1) | instid1(VALU_DEP_1)
	v_sub_nc_u32_e32 v1, 0, v0
	s_mul_f32 s4, s4, 0x4f7ffffe
	v_max_i32_e32 v1, v0, v1
	s_delay_alu instid0(SALU_CYCLE_2) | instskip(NEXT) | instid1(SALU_CYCLE_3)
	s_cvt_u32_f32 s4, s4
	s_mul_i32 s5, s5, s4
	s_delay_alu instid0(SALU_CYCLE_1) | instskip(NEXT) | instid1(SALU_CYCLE_1)
	s_mul_hi_u32 s5, s4, s5
	s_add_co_i32 s4, s4, s5
	s_delay_alu instid0(SALU_CYCLE_1) | instskip(NEXT) | instid1(VALU_DEP_1)
	v_mul_hi_u32 v2, v1, s4
	v_mul_lo_u32 v3, v2, s6
	s_delay_alu instid0(VALU_DEP_1) | instskip(NEXT) | instid1(VALU_DEP_1)
	v_dual_sub_nc_u32 v1, v1, v3 :: v_dual_add_nc_u32 v3, 1, v2
	v_cmp_le_u32_e32 vcc_lo, s6, v1
	s_delay_alu instid0(VALU_DEP_2) | instskip(SKIP_1) | instid1(VALU_DEP_1)
	v_dual_cndmask_b32 v2, v2, v3, vcc_lo :: v_dual_bitop2_b32 v3, s2, v0 bitop3:0x14
	v_subrev_nc_u32_e32 v4, s6, v1
	v_dual_cndmask_b32 v1, v1, v4 :: v_dual_add_nc_u32 v4, 1, v2
	s_delay_alu instid0(VALU_DEP_1) | instskip(NEXT) | instid1(VALU_DEP_2)
	v_cmp_le_u32_e32 vcc_lo, s6, v1
	v_dual_ashrrev_i32 v3, 31, v3 :: v_dual_cndmask_b32 v1, v2, v4, vcc_lo
	s_delay_alu instid0(VALU_DEP_1) | instskip(NEXT) | instid1(VALU_DEP_1)
	v_xor_b32_e32 v1, v1, v3
	v_sub_nc_u32_e32 v1, v1, v3
	s_delay_alu instid0(VALU_DEP_1)
	v_cmp_gt_i32_e32 vcc_lo, s3, v1
	s_and_saveexec_b32 s3, vcc_lo
	s_cbranch_execz .LBB0_2
; %bb.1:
	s_load_b128 s[4:7], s[0:1], 0x0
	v_mul_lo_u32 v1, v1, s2
	s_wait_xcnt 0x0
	s_load_b32 s0, s[0:1], 0x1c
	s_delay_alu instid0(VALU_DEP_1)
	v_sub_nc_u32_e32 v1, v0, v1
	s_wait_kmcnt 0x0
	global_load_b32 v2, v1, s[6:7] scale_offset
	global_load_b32 v3, v0, s[4:5] scale_offset
	s_wait_loadcnt 0x1
	s_wait_xcnt 0x1
	v_mul_f32_e32 v1, s0, v2
	s_wait_loadcnt 0x0
	s_delay_alu instid0(VALU_DEP_1) | instskip(NEXT) | instid1(VALU_DEP_1)
	v_div_scale_f32 v2, null, v1, v1, v3
	v_rcp_f32_e32 v4, v2
	v_nop
	s_delay_alu instid0(TRANS32_DEP_1) | instskip(NEXT) | instid1(VALU_DEP_1)
	v_fma_f32 v5, -v2, v4, 1.0
	v_fmac_f32_e32 v4, v5, v4
	v_div_scale_f32 v5, vcc_lo, v3, v1, v3
	s_delay_alu instid0(VALU_DEP_1) | instskip(NEXT) | instid1(VALU_DEP_1)
	v_mul_f32_e32 v6, v5, v4
	v_fma_f32 v7, -v2, v6, v5
	s_delay_alu instid0(VALU_DEP_1) | instskip(NEXT) | instid1(VALU_DEP_1)
	v_fmac_f32_e32 v6, v7, v4
	v_fma_f32 v2, -v2, v6, v5
	s_delay_alu instid0(VALU_DEP_1) | instskip(NEXT) | instid1(VALU_DEP_1)
	v_div_fmas_f32 v2, v2, v4, v6
	v_div_fixup_f32 v1, v2, v1, v3
	global_store_b32 v0, v1, s[4:5] scale_offset
.LBB0_2:
	s_endpgm
	.section	.rodata,"a",@progbits
	.p2align	6, 0x0
	.amdhsa_kernel _ZN4tsne5utils21BroadcastColumnVectorIN6thrust23THRUST_200600_302600_NS7dividesIfEEfEEvPT0_PKS6_iiT_S6_
		.amdhsa_group_segment_fixed_size 0
		.amdhsa_private_segment_fixed_size 0
		.amdhsa_kernarg_size 288
		.amdhsa_user_sgpr_count 2
		.amdhsa_user_sgpr_dispatch_ptr 0
		.amdhsa_user_sgpr_queue_ptr 0
		.amdhsa_user_sgpr_kernarg_segment_ptr 1
		.amdhsa_user_sgpr_dispatch_id 0
		.amdhsa_user_sgpr_kernarg_preload_length 0
		.amdhsa_user_sgpr_kernarg_preload_offset 0
		.amdhsa_user_sgpr_private_segment_size 0
		.amdhsa_wavefront_size32 1
		.amdhsa_uses_dynamic_stack 0
		.amdhsa_enable_private_segment 0
		.amdhsa_system_sgpr_workgroup_id_x 1
		.amdhsa_system_sgpr_workgroup_id_y 0
		.amdhsa_system_sgpr_workgroup_id_z 0
		.amdhsa_system_sgpr_workgroup_info 0
		.amdhsa_system_vgpr_workitem_id 0
		.amdhsa_next_free_vgpr 8
		.amdhsa_next_free_sgpr 8
		.amdhsa_named_barrier_count 0
		.amdhsa_reserve_vcc 1
		.amdhsa_float_round_mode_32 0
		.amdhsa_float_round_mode_16_64 0
		.amdhsa_float_denorm_mode_32 3
		.amdhsa_float_denorm_mode_16_64 3
		.amdhsa_fp16_overflow 0
		.amdhsa_memory_ordered 1
		.amdhsa_forward_progress 1
		.amdhsa_inst_pref_size 4
		.amdhsa_round_robin_scheduling 0
		.amdhsa_exception_fp_ieee_invalid_op 0
		.amdhsa_exception_fp_denorm_src 0
		.amdhsa_exception_fp_ieee_div_zero 0
		.amdhsa_exception_fp_ieee_overflow 0
		.amdhsa_exception_fp_ieee_underflow 0
		.amdhsa_exception_fp_ieee_inexact 0
		.amdhsa_exception_int_div_zero 0
	.end_amdhsa_kernel
	.section	.text._ZN4tsne5utils21BroadcastColumnVectorIN6thrust23THRUST_200600_302600_NS7dividesIfEEfEEvPT0_PKS6_iiT_S6_,"axG",@progbits,_ZN4tsne5utils21BroadcastColumnVectorIN6thrust23THRUST_200600_302600_NS7dividesIfEEfEEvPT0_PKS6_iiT_S6_,comdat
.Lfunc_end0:
	.size	_ZN4tsne5utils21BroadcastColumnVectorIN6thrust23THRUST_200600_302600_NS7dividesIfEEfEEvPT0_PKS6_iiT_S6_, .Lfunc_end0-_ZN4tsne5utils21BroadcastColumnVectorIN6thrust23THRUST_200600_302600_NS7dividesIfEEfEEvPT0_PKS6_iiT_S6_
                                        ; -- End function
	.set _ZN4tsne5utils21BroadcastColumnVectorIN6thrust23THRUST_200600_302600_NS7dividesIfEEfEEvPT0_PKS6_iiT_S6_.num_vgpr, 8
	.set _ZN4tsne5utils21BroadcastColumnVectorIN6thrust23THRUST_200600_302600_NS7dividesIfEEfEEvPT0_PKS6_iiT_S6_.num_agpr, 0
	.set _ZN4tsne5utils21BroadcastColumnVectorIN6thrust23THRUST_200600_302600_NS7dividesIfEEfEEvPT0_PKS6_iiT_S6_.numbered_sgpr, 8
	.set _ZN4tsne5utils21BroadcastColumnVectorIN6thrust23THRUST_200600_302600_NS7dividesIfEEfEEvPT0_PKS6_iiT_S6_.num_named_barrier, 0
	.set _ZN4tsne5utils21BroadcastColumnVectorIN6thrust23THRUST_200600_302600_NS7dividesIfEEfEEvPT0_PKS6_iiT_S6_.private_seg_size, 0
	.set _ZN4tsne5utils21BroadcastColumnVectorIN6thrust23THRUST_200600_302600_NS7dividesIfEEfEEvPT0_PKS6_iiT_S6_.uses_vcc, 1
	.set _ZN4tsne5utils21BroadcastColumnVectorIN6thrust23THRUST_200600_302600_NS7dividesIfEEfEEvPT0_PKS6_iiT_S6_.uses_flat_scratch, 0
	.set _ZN4tsne5utils21BroadcastColumnVectorIN6thrust23THRUST_200600_302600_NS7dividesIfEEfEEvPT0_PKS6_iiT_S6_.has_dyn_sized_stack, 0
	.set _ZN4tsne5utils21BroadcastColumnVectorIN6thrust23THRUST_200600_302600_NS7dividesIfEEfEEvPT0_PKS6_iiT_S6_.has_recursion, 0
	.set _ZN4tsne5utils21BroadcastColumnVectorIN6thrust23THRUST_200600_302600_NS7dividesIfEEfEEvPT0_PKS6_iiT_S6_.has_indirect_call, 0
	.section	.AMDGPU.csdata,"",@progbits
; Kernel info:
; codeLenInByte = 460
; TotalNumSgprs: 10
; NumVgprs: 8
; ScratchSize: 0
; MemoryBound: 0
; FloatMode: 240
; IeeeMode: 1
; LDSByteSize: 0 bytes/workgroup (compile time only)
; SGPRBlocks: 0
; VGPRBlocks: 0
; NumSGPRsForWavesPerEU: 10
; NumVGPRsForWavesPerEU: 8
; NamedBarCnt: 0
; Occupancy: 16
; WaveLimiterHint : 0
; COMPUTE_PGM_RSRC2:SCRATCH_EN: 0
; COMPUTE_PGM_RSRC2:USER_SGPR: 2
; COMPUTE_PGM_RSRC2:TRAP_HANDLER: 0
; COMPUTE_PGM_RSRC2:TGID_X_EN: 1
; COMPUTE_PGM_RSRC2:TGID_Y_EN: 0
; COMPUTE_PGM_RSRC2:TGID_Z_EN: 0
; COMPUTE_PGM_RSRC2:TIDIG_COMP_CNT: 0
	.section	.text._ZN4tsne5utils21BroadcastColumnVectorIN6thrust23THRUST_200600_302600_NS5minusIfEEfEEvPT0_PKS6_iiT_S6_,"axG",@progbits,_ZN4tsne5utils21BroadcastColumnVectorIN6thrust23THRUST_200600_302600_NS5minusIfEEfEEvPT0_PKS6_iiT_S6_,comdat
	.protected	_ZN4tsne5utils21BroadcastColumnVectorIN6thrust23THRUST_200600_302600_NS5minusIfEEfEEvPT0_PKS6_iiT_S6_ ; -- Begin function _ZN4tsne5utils21BroadcastColumnVectorIN6thrust23THRUST_200600_302600_NS5minusIfEEfEEvPT0_PKS6_iiT_S6_
	.globl	_ZN4tsne5utils21BroadcastColumnVectorIN6thrust23THRUST_200600_302600_NS5minusIfEEfEEvPT0_PKS6_iiT_S6_
	.p2align	8
	.type	_ZN4tsne5utils21BroadcastColumnVectorIN6thrust23THRUST_200600_302600_NS5minusIfEEfEEvPT0_PKS6_iiT_S6_,@function
_ZN4tsne5utils21BroadcastColumnVectorIN6thrust23THRUST_200600_302600_NS5minusIfEEfEEvPT0_PKS6_iiT_S6_: ; @_ZN4tsne5utils21BroadcastColumnVectorIN6thrust23THRUST_200600_302600_NS5minusIfEEfEEvPT0_PKS6_iiT_S6_
; %bb.0:
	s_clause 0x1
	s_load_b32 s4, s[0:1], 0x2c
	s_load_b64 s[2:3], s[0:1], 0x10
	s_bfe_u32 s5, ttmp6, 0x4000c
	s_and_b32 s6, ttmp6, 15
	s_add_co_i32 s5, s5, 1
	s_getreg_b32 s7, hwreg(HW_REG_IB_STS2, 6, 4)
	s_mul_i32 s5, ttmp9, s5
	s_delay_alu instid0(SALU_CYCLE_1)
	s_add_co_i32 s6, s6, s5
	s_wait_kmcnt 0x0
	s_and_b32 s4, s4, 0xffff
	s_cmp_eq_u32 s7, 0
	s_cselect_b32 s5, ttmp9, s6
	s_abs_i32 s6, s2
	v_mad_u32 v0, s5, s4, v0
	s_cvt_f32_u32 s7, s6
	s_sub_co_i32 s5, 0, s6
	s_delay_alu instid0(SALU_CYCLE_2) | instskip(SKIP_1) | instid1(TRANS32_DEP_1)
	v_rcp_iflag_f32_e32 v1, s7
	v_nop
	v_readfirstlane_b32 s4, v1
	s_delay_alu instid0(VALU_DEP_3) | instskip(SKIP_1) | instid1(VALU_DEP_1)
	v_sub_nc_u32_e32 v1, 0, v0
	s_mul_f32 s4, s4, 0x4f7ffffe
	v_max_i32_e32 v1, v0, v1
	s_delay_alu instid0(SALU_CYCLE_2) | instskip(NEXT) | instid1(SALU_CYCLE_3)
	s_cvt_u32_f32 s4, s4
	s_mul_i32 s5, s5, s4
	s_delay_alu instid0(SALU_CYCLE_1) | instskip(NEXT) | instid1(SALU_CYCLE_1)
	s_mul_hi_u32 s5, s4, s5
	s_add_co_i32 s4, s4, s5
	s_delay_alu instid0(SALU_CYCLE_1) | instskip(NEXT) | instid1(VALU_DEP_1)
	v_mul_hi_u32 v2, v1, s4
	v_mul_lo_u32 v3, v2, s6
	s_delay_alu instid0(VALU_DEP_1) | instskip(NEXT) | instid1(VALU_DEP_1)
	v_dual_sub_nc_u32 v1, v1, v3 :: v_dual_add_nc_u32 v3, 1, v2
	v_cmp_le_u32_e32 vcc_lo, s6, v1
	s_delay_alu instid0(VALU_DEP_2) | instskip(SKIP_1) | instid1(VALU_DEP_1)
	v_dual_cndmask_b32 v2, v2, v3, vcc_lo :: v_dual_bitop2_b32 v3, s2, v0 bitop3:0x14
	v_subrev_nc_u32_e32 v4, s6, v1
	v_dual_cndmask_b32 v1, v1, v4 :: v_dual_add_nc_u32 v4, 1, v2
	s_delay_alu instid0(VALU_DEP_1) | instskip(NEXT) | instid1(VALU_DEP_2)
	v_cmp_le_u32_e32 vcc_lo, s6, v1
	v_dual_ashrrev_i32 v3, 31, v3 :: v_dual_cndmask_b32 v1, v2, v4, vcc_lo
	s_delay_alu instid0(VALU_DEP_1) | instskip(NEXT) | instid1(VALU_DEP_1)
	v_xor_b32_e32 v1, v1, v3
	v_sub_nc_u32_e32 v1, v1, v3
	s_delay_alu instid0(VALU_DEP_1)
	v_cmp_gt_i32_e32 vcc_lo, s3, v1
	s_and_saveexec_b32 s3, vcc_lo
	s_cbranch_execz .LBB1_2
; %bb.1:
	s_load_b128 s[4:7], s[0:1], 0x0
	v_mul_lo_u32 v1, v1, s2
	s_wait_xcnt 0x0
	s_load_b32 s0, s[0:1], 0x1c
	s_delay_alu instid0(VALU_DEP_1)
	v_sub_nc_u32_e32 v1, v0, v1
	s_wait_kmcnt 0x0
	global_load_b32 v2, v1, s[6:7] scale_offset
	global_load_b32 v3, v0, s[4:5] scale_offset
	s_wait_loadcnt 0x0
	v_fma_f32 v1, -s0, v2, v3
	global_store_b32 v0, v1, s[4:5] scale_offset
.LBB1_2:
	s_endpgm
	.section	.rodata,"a",@progbits
	.p2align	6, 0x0
	.amdhsa_kernel _ZN4tsne5utils21BroadcastColumnVectorIN6thrust23THRUST_200600_302600_NS5minusIfEEfEEvPT0_PKS6_iiT_S6_
		.amdhsa_group_segment_fixed_size 0
		.amdhsa_private_segment_fixed_size 0
		.amdhsa_kernarg_size 288
		.amdhsa_user_sgpr_count 2
		.amdhsa_user_sgpr_dispatch_ptr 0
		.amdhsa_user_sgpr_queue_ptr 0
		.amdhsa_user_sgpr_kernarg_segment_ptr 1
		.amdhsa_user_sgpr_dispatch_id 0
		.amdhsa_user_sgpr_kernarg_preload_length 0
		.amdhsa_user_sgpr_kernarg_preload_offset 0
		.amdhsa_user_sgpr_private_segment_size 0
		.amdhsa_wavefront_size32 1
		.amdhsa_uses_dynamic_stack 0
		.amdhsa_enable_private_segment 0
		.amdhsa_system_sgpr_workgroup_id_x 1
		.amdhsa_system_sgpr_workgroup_id_y 0
		.amdhsa_system_sgpr_workgroup_id_z 0
		.amdhsa_system_sgpr_workgroup_info 0
		.amdhsa_system_vgpr_workitem_id 0
		.amdhsa_next_free_vgpr 5
		.amdhsa_next_free_sgpr 8
		.amdhsa_named_barrier_count 0
		.amdhsa_reserve_vcc 1
		.amdhsa_float_round_mode_32 0
		.amdhsa_float_round_mode_16_64 0
		.amdhsa_float_denorm_mode_32 3
		.amdhsa_float_denorm_mode_16_64 3
		.amdhsa_fp16_overflow 0
		.amdhsa_memory_ordered 1
		.amdhsa_forward_progress 1
		.amdhsa_inst_pref_size 3
		.amdhsa_round_robin_scheduling 0
		.amdhsa_exception_fp_ieee_invalid_op 0
		.amdhsa_exception_fp_denorm_src 0
		.amdhsa_exception_fp_ieee_div_zero 0
		.amdhsa_exception_fp_ieee_overflow 0
		.amdhsa_exception_fp_ieee_underflow 0
		.amdhsa_exception_fp_ieee_inexact 0
		.amdhsa_exception_int_div_zero 0
	.end_amdhsa_kernel
	.section	.text._ZN4tsne5utils21BroadcastColumnVectorIN6thrust23THRUST_200600_302600_NS5minusIfEEfEEvPT0_PKS6_iiT_S6_,"axG",@progbits,_ZN4tsne5utils21BroadcastColumnVectorIN6thrust23THRUST_200600_302600_NS5minusIfEEfEEvPT0_PKS6_iiT_S6_,comdat
.Lfunc_end1:
	.size	_ZN4tsne5utils21BroadcastColumnVectorIN6thrust23THRUST_200600_302600_NS5minusIfEEfEEvPT0_PKS6_iiT_S6_, .Lfunc_end1-_ZN4tsne5utils21BroadcastColumnVectorIN6thrust23THRUST_200600_302600_NS5minusIfEEfEEvPT0_PKS6_iiT_S6_
                                        ; -- End function
	.set _ZN4tsne5utils21BroadcastColumnVectorIN6thrust23THRUST_200600_302600_NS5minusIfEEfEEvPT0_PKS6_iiT_S6_.num_vgpr, 5
	.set _ZN4tsne5utils21BroadcastColumnVectorIN6thrust23THRUST_200600_302600_NS5minusIfEEfEEvPT0_PKS6_iiT_S6_.num_agpr, 0
	.set _ZN4tsne5utils21BroadcastColumnVectorIN6thrust23THRUST_200600_302600_NS5minusIfEEfEEvPT0_PKS6_iiT_S6_.numbered_sgpr, 8
	.set _ZN4tsne5utils21BroadcastColumnVectorIN6thrust23THRUST_200600_302600_NS5minusIfEEfEEvPT0_PKS6_iiT_S6_.num_named_barrier, 0
	.set _ZN4tsne5utils21BroadcastColumnVectorIN6thrust23THRUST_200600_302600_NS5minusIfEEfEEvPT0_PKS6_iiT_S6_.private_seg_size, 0
	.set _ZN4tsne5utils21BroadcastColumnVectorIN6thrust23THRUST_200600_302600_NS5minusIfEEfEEvPT0_PKS6_iiT_S6_.uses_vcc, 1
	.set _ZN4tsne5utils21BroadcastColumnVectorIN6thrust23THRUST_200600_302600_NS5minusIfEEfEEvPT0_PKS6_iiT_S6_.uses_flat_scratch, 0
	.set _ZN4tsne5utils21BroadcastColumnVectorIN6thrust23THRUST_200600_302600_NS5minusIfEEfEEvPT0_PKS6_iiT_S6_.has_dyn_sized_stack, 0
	.set _ZN4tsne5utils21BroadcastColumnVectorIN6thrust23THRUST_200600_302600_NS5minusIfEEfEEvPT0_PKS6_iiT_S6_.has_recursion, 0
	.set _ZN4tsne5utils21BroadcastColumnVectorIN6thrust23THRUST_200600_302600_NS5minusIfEEfEEvPT0_PKS6_iiT_S6_.has_indirect_call, 0
	.section	.AMDGPU.csdata,"",@progbits
; Kernel info:
; codeLenInByte = 360
; TotalNumSgprs: 10
; NumVgprs: 5
; ScratchSize: 0
; MemoryBound: 0
; FloatMode: 240
; IeeeMode: 1
; LDSByteSize: 0 bytes/workgroup (compile time only)
; SGPRBlocks: 0
; VGPRBlocks: 0
; NumSGPRsForWavesPerEU: 10
; NumVGPRsForWavesPerEU: 5
; NamedBarCnt: 0
; Occupancy: 16
; WaveLimiterHint : 0
; COMPUTE_PGM_RSRC2:SCRATCH_EN: 0
; COMPUTE_PGM_RSRC2:USER_SGPR: 2
; COMPUTE_PGM_RSRC2:TRAP_HANDLER: 0
; COMPUTE_PGM_RSRC2:TGID_X_EN: 1
; COMPUTE_PGM_RSRC2:TGID_Y_EN: 0
; COMPUTE_PGM_RSRC2:TGID_Z_EN: 0
; COMPUTE_PGM_RSRC2:TIDIG_COMP_CNT: 0
	.section	.text._ZN4tsne5utils21BroadcastColumnVectorIN6thrust23THRUST_200600_302600_NS10multipliesINS3_7complexIfEEEES6_EEvPT0_PKS8_iiT_S8_,"axG",@progbits,_ZN4tsne5utils21BroadcastColumnVectorIN6thrust23THRUST_200600_302600_NS10multipliesINS3_7complexIfEEEES6_EEvPT0_PKS8_iiT_S8_,comdat
	.protected	_ZN4tsne5utils21BroadcastColumnVectorIN6thrust23THRUST_200600_302600_NS10multipliesINS3_7complexIfEEEES6_EEvPT0_PKS8_iiT_S8_ ; -- Begin function _ZN4tsne5utils21BroadcastColumnVectorIN6thrust23THRUST_200600_302600_NS10multipliesINS3_7complexIfEEEES6_EEvPT0_PKS8_iiT_S8_
	.globl	_ZN4tsne5utils21BroadcastColumnVectorIN6thrust23THRUST_200600_302600_NS10multipliesINS3_7complexIfEEEES6_EEvPT0_PKS8_iiT_S8_
	.p2align	8
	.type	_ZN4tsne5utils21BroadcastColumnVectorIN6thrust23THRUST_200600_302600_NS10multipliesINS3_7complexIfEEEES6_EEvPT0_PKS8_iiT_S8_,@function
_ZN4tsne5utils21BroadcastColumnVectorIN6thrust23THRUST_200600_302600_NS10multipliesINS3_7complexIfEEEES6_EEvPT0_PKS8_iiT_S8_: ; @_ZN4tsne5utils21BroadcastColumnVectorIN6thrust23THRUST_200600_302600_NS10multipliesINS3_7complexIfEEEES6_EEvPT0_PKS8_iiT_S8_
; %bb.0:
	s_clause 0x1
	s_load_b32 s4, s[0:1], 0x34
	s_load_b64 s[2:3], s[0:1], 0x10
	s_bfe_u32 s5, ttmp6, 0x4000c
	s_and_b32 s6, ttmp6, 15
	s_add_co_i32 s5, s5, 1
	s_getreg_b32 s7, hwreg(HW_REG_IB_STS2, 6, 4)
	s_mul_i32 s5, ttmp9, s5
	s_delay_alu instid0(SALU_CYCLE_1)
	s_add_co_i32 s6, s6, s5
	s_wait_kmcnt 0x0
	s_and_b32 s4, s4, 0xffff
	s_cmp_eq_u32 s7, 0
	s_cselect_b32 s5, ttmp9, s6
	s_abs_i32 s6, s2
	v_mad_u32 v0, s5, s4, v0
	s_cvt_f32_u32 s7, s6
	s_sub_co_i32 s5, 0, s6
	s_delay_alu instid0(SALU_CYCLE_2) | instskip(SKIP_1) | instid1(TRANS32_DEP_1)
	v_rcp_iflag_f32_e32 v1, s7
	v_nop
	v_readfirstlane_b32 s4, v1
	s_delay_alu instid0(VALU_DEP_3) | instskip(SKIP_1) | instid1(VALU_DEP_1)
	v_sub_nc_u32_e32 v1, 0, v0
	s_mul_f32 s4, s4, 0x4f7ffffe
	v_max_i32_e32 v1, v0, v1
	s_delay_alu instid0(SALU_CYCLE_2) | instskip(NEXT) | instid1(SALU_CYCLE_3)
	s_cvt_u32_f32 s4, s4
	s_mul_i32 s5, s5, s4
	s_delay_alu instid0(SALU_CYCLE_1) | instskip(NEXT) | instid1(SALU_CYCLE_1)
	s_mul_hi_u32 s5, s4, s5
	s_add_co_i32 s4, s4, s5
	s_delay_alu instid0(SALU_CYCLE_1) | instskip(NEXT) | instid1(VALU_DEP_1)
	v_mul_hi_u32 v2, v1, s4
	v_mul_lo_u32 v3, v2, s6
	s_delay_alu instid0(VALU_DEP_1) | instskip(NEXT) | instid1(VALU_DEP_1)
	v_dual_sub_nc_u32 v1, v1, v3 :: v_dual_add_nc_u32 v3, 1, v2
	v_cmp_le_u32_e32 vcc_lo, s6, v1
	s_delay_alu instid0(VALU_DEP_2) | instskip(SKIP_1) | instid1(VALU_DEP_1)
	v_dual_cndmask_b32 v2, v2, v3, vcc_lo :: v_dual_bitop2_b32 v3, s2, v0 bitop3:0x14
	v_subrev_nc_u32_e32 v4, s6, v1
	v_dual_cndmask_b32 v1, v1, v4 :: v_dual_add_nc_u32 v4, 1, v2
	s_delay_alu instid0(VALU_DEP_1) | instskip(NEXT) | instid1(VALU_DEP_2)
	v_cmp_le_u32_e32 vcc_lo, s6, v1
	v_dual_ashrrev_i32 v3, 31, v3 :: v_dual_cndmask_b32 v1, v2, v4, vcc_lo
	s_delay_alu instid0(VALU_DEP_1) | instskip(NEXT) | instid1(VALU_DEP_1)
	v_xor_b32_e32 v1, v1, v3
	v_sub_nc_u32_e32 v1, v1, v3
	s_delay_alu instid0(VALU_DEP_1)
	v_cmp_gt_i32_e32 vcc_lo, s3, v1
	s_and_saveexec_b32 s3, vcc_lo
	s_cbranch_execz .LBB2_2
; %bb.1:
	s_load_b128 s[4:7], s[0:1], 0x0
	v_mul_lo_u32 v1, v1, s2
	s_wait_xcnt 0x0
	s_load_b64 s[0:1], s[0:1], 0x20
	s_delay_alu instid0(VALU_DEP_1)
	v_sub_nc_u32_e32 v1, v0, v1
	s_wait_kmcnt 0x0
	global_load_b64 v[2:3], v1, s[6:7] scale_offset
	global_load_b64 v[4:5], v0, s[4:5] scale_offset
	v_mov_b64_e32 v[6:7], s[0:1]
	s_wait_loadcnt 0x1
	s_delay_alu instid0(VALU_DEP_1) | instskip(SKIP_1) | instid1(VALU_DEP_2)
	v_pk_mul_f32 v[8:9], v[6:7], v[2:3] op_sel:[1,0] op_sel_hi:[0,1]
	v_pk_mul_f32 v[2:3], v[6:7], v[2:3]
	v_add_f32_e32 v8, v8, v9
	s_delay_alu instid0(VALU_DEP_2) | instskip(SKIP_1) | instid1(VALU_DEP_2)
	v_pk_add_f32 v[2:3], v[2:3], v[2:3] op_sel:[0,1] op_sel_hi:[0,1] neg_lo:[0,1] neg_hi:[0,1]
	s_wait_loadcnt 0x0
	v_pk_mul_f32 v[6:7], v[4:5], v[8:9] op_sel:[1,0] op_sel_hi:[0,0]
	s_delay_alu instid0(VALU_DEP_1) | instskip(SKIP_1) | instid1(VALU_DEP_2)
	v_pk_fma_f32 v[8:9], v[4:5], v[2:3], v[6:7]
	v_pk_fma_f32 v[2:3], v[4:5], v[2:3], v[6:7] neg_lo:[0,0,1] neg_hi:[0,0,1]
	v_mov_b32_e32 v3, v9
	global_store_b64 v0, v[2:3], s[4:5] scale_offset
.LBB2_2:
	s_endpgm
	.section	.rodata,"a",@progbits
	.p2align	6, 0x0
	.amdhsa_kernel _ZN4tsne5utils21BroadcastColumnVectorIN6thrust23THRUST_200600_302600_NS10multipliesINS3_7complexIfEEEES6_EEvPT0_PKS8_iiT_S8_
		.amdhsa_group_segment_fixed_size 0
		.amdhsa_private_segment_fixed_size 0
		.amdhsa_kernarg_size 296
		.amdhsa_user_sgpr_count 2
		.amdhsa_user_sgpr_dispatch_ptr 0
		.amdhsa_user_sgpr_queue_ptr 0
		.amdhsa_user_sgpr_kernarg_segment_ptr 1
		.amdhsa_user_sgpr_dispatch_id 0
		.amdhsa_user_sgpr_kernarg_preload_length 0
		.amdhsa_user_sgpr_kernarg_preload_offset 0
		.amdhsa_user_sgpr_private_segment_size 0
		.amdhsa_wavefront_size32 1
		.amdhsa_uses_dynamic_stack 0
		.amdhsa_enable_private_segment 0
		.amdhsa_system_sgpr_workgroup_id_x 1
		.amdhsa_system_sgpr_workgroup_id_y 0
		.amdhsa_system_sgpr_workgroup_id_z 0
		.amdhsa_system_sgpr_workgroup_info 0
		.amdhsa_system_vgpr_workitem_id 0
		.amdhsa_next_free_vgpr 10
		.amdhsa_next_free_sgpr 8
		.amdhsa_named_barrier_count 0
		.amdhsa_reserve_vcc 1
		.amdhsa_float_round_mode_32 0
		.amdhsa_float_round_mode_16_64 0
		.amdhsa_float_denorm_mode_32 3
		.amdhsa_float_denorm_mode_16_64 3
		.amdhsa_fp16_overflow 0
		.amdhsa_memory_ordered 1
		.amdhsa_forward_progress 1
		.amdhsa_inst_pref_size 4
		.amdhsa_round_robin_scheduling 0
		.amdhsa_exception_fp_ieee_invalid_op 0
		.amdhsa_exception_fp_denorm_src 0
		.amdhsa_exception_fp_ieee_div_zero 0
		.amdhsa_exception_fp_ieee_overflow 0
		.amdhsa_exception_fp_ieee_underflow 0
		.amdhsa_exception_fp_ieee_inexact 0
		.amdhsa_exception_int_div_zero 0
	.end_amdhsa_kernel
	.section	.text._ZN4tsne5utils21BroadcastColumnVectorIN6thrust23THRUST_200600_302600_NS10multipliesINS3_7complexIfEEEES6_EEvPT0_PKS8_iiT_S8_,"axG",@progbits,_ZN4tsne5utils21BroadcastColumnVectorIN6thrust23THRUST_200600_302600_NS10multipliesINS3_7complexIfEEEES6_EEvPT0_PKS8_iiT_S8_,comdat
.Lfunc_end2:
	.size	_ZN4tsne5utils21BroadcastColumnVectorIN6thrust23THRUST_200600_302600_NS10multipliesINS3_7complexIfEEEES6_EEvPT0_PKS8_iiT_S8_, .Lfunc_end2-_ZN4tsne5utils21BroadcastColumnVectorIN6thrust23THRUST_200600_302600_NS10multipliesINS3_7complexIfEEEES6_EEvPT0_PKS8_iiT_S8_
                                        ; -- End function
	.set _ZN4tsne5utils21BroadcastColumnVectorIN6thrust23THRUST_200600_302600_NS10multipliesINS3_7complexIfEEEES6_EEvPT0_PKS8_iiT_S8_.num_vgpr, 10
	.set _ZN4tsne5utils21BroadcastColumnVectorIN6thrust23THRUST_200600_302600_NS10multipliesINS3_7complexIfEEEES6_EEvPT0_PKS8_iiT_S8_.num_agpr, 0
	.set _ZN4tsne5utils21BroadcastColumnVectorIN6thrust23THRUST_200600_302600_NS10multipliesINS3_7complexIfEEEES6_EEvPT0_PKS8_iiT_S8_.numbered_sgpr, 8
	.set _ZN4tsne5utils21BroadcastColumnVectorIN6thrust23THRUST_200600_302600_NS10multipliesINS3_7complexIfEEEES6_EEvPT0_PKS8_iiT_S8_.num_named_barrier, 0
	.set _ZN4tsne5utils21BroadcastColumnVectorIN6thrust23THRUST_200600_302600_NS10multipliesINS3_7complexIfEEEES6_EEvPT0_PKS8_iiT_S8_.private_seg_size, 0
	.set _ZN4tsne5utils21BroadcastColumnVectorIN6thrust23THRUST_200600_302600_NS10multipliesINS3_7complexIfEEEES6_EEvPT0_PKS8_iiT_S8_.uses_vcc, 1
	.set _ZN4tsne5utils21BroadcastColumnVectorIN6thrust23THRUST_200600_302600_NS10multipliesINS3_7complexIfEEEES6_EEvPT0_PKS8_iiT_S8_.uses_flat_scratch, 0
	.set _ZN4tsne5utils21BroadcastColumnVectorIN6thrust23THRUST_200600_302600_NS10multipliesINS3_7complexIfEEEES6_EEvPT0_PKS8_iiT_S8_.has_dyn_sized_stack, 0
	.set _ZN4tsne5utils21BroadcastColumnVectorIN6thrust23THRUST_200600_302600_NS10multipliesINS3_7complexIfEEEES6_EEvPT0_PKS8_iiT_S8_.has_recursion, 0
	.set _ZN4tsne5utils21BroadcastColumnVectorIN6thrust23THRUST_200600_302600_NS10multipliesINS3_7complexIfEEEES6_EEvPT0_PKS8_iiT_S8_.has_indirect_call, 0
	.section	.AMDGPU.csdata,"",@progbits
; Kernel info:
; codeLenInByte = 428
; TotalNumSgprs: 10
; NumVgprs: 10
; ScratchSize: 0
; MemoryBound: 0
; FloatMode: 240
; IeeeMode: 1
; LDSByteSize: 0 bytes/workgroup (compile time only)
; SGPRBlocks: 0
; VGPRBlocks: 0
; NumSGPRsForWavesPerEU: 10
; NumVGPRsForWavesPerEU: 10
; NamedBarCnt: 0
; Occupancy: 16
; WaveLimiterHint : 0
; COMPUTE_PGM_RSRC2:SCRATCH_EN: 0
; COMPUTE_PGM_RSRC2:USER_SGPR: 2
; COMPUTE_PGM_RSRC2:TRAP_HANDLER: 0
; COMPUTE_PGM_RSRC2:TGID_X_EN: 1
; COMPUTE_PGM_RSRC2:TGID_Y_EN: 0
; COMPUTE_PGM_RSRC2:TGID_Z_EN: 0
; COMPUTE_PGM_RSRC2:TIDIG_COMP_CNT: 0
	.section	.AMDGPU.gpr_maximums,"",@progbits
	.set amdgpu.max_num_vgpr, 0
	.set amdgpu.max_num_agpr, 0
	.set amdgpu.max_num_sgpr, 0
	.section	.AMDGPU.csdata,"",@progbits
	.type	__hip_cuid_7f42e6999ac36f44,@object ; @__hip_cuid_7f42e6999ac36f44
	.section	.bss,"aw",@nobits
	.globl	__hip_cuid_7f42e6999ac36f44
__hip_cuid_7f42e6999ac36f44:
	.byte	0                               ; 0x0
	.size	__hip_cuid_7f42e6999ac36f44, 1

	.ident	"AMD clang version 22.0.0git (https://github.com/RadeonOpenCompute/llvm-project roc-7.2.4 26084 f58b06dce1f9c15707c5f808fd002e18c2accf7e)"
	.section	".note.GNU-stack","",@progbits
	.addrsig
	.addrsig_sym __hip_cuid_7f42e6999ac36f44
	.amdgpu_metadata
---
amdhsa.kernels:
  - .args:
      - .address_space:  global
        .offset:         0
        .size:           8
        .value_kind:     global_buffer
      - .actual_access:  read_only
        .address_space:  global
        .offset:         8
        .size:           8
        .value_kind:     global_buffer
      - .offset:         16
        .size:           4
        .value_kind:     by_value
      - .offset:         20
        .size:           4
        .value_kind:     by_value
      - .offset:         24
        .size:           1
        .value_kind:     by_value
      - .offset:         28
        .size:           4
        .value_kind:     by_value
      - .offset:         32
        .size:           4
        .value_kind:     hidden_block_count_x
      - .offset:         36
        .size:           4
        .value_kind:     hidden_block_count_y
      - .offset:         40
        .size:           4
        .value_kind:     hidden_block_count_z
      - .offset:         44
        .size:           2
        .value_kind:     hidden_group_size_x
      - .offset:         46
        .size:           2
        .value_kind:     hidden_group_size_y
      - .offset:         48
        .size:           2
        .value_kind:     hidden_group_size_z
      - .offset:         50
        .size:           2
        .value_kind:     hidden_remainder_x
      - .offset:         52
        .size:           2
        .value_kind:     hidden_remainder_y
      - .offset:         54
        .size:           2
        .value_kind:     hidden_remainder_z
      - .offset:         72
        .size:           8
        .value_kind:     hidden_global_offset_x
      - .offset:         80
        .size:           8
        .value_kind:     hidden_global_offset_y
      - .offset:         88
        .size:           8
        .value_kind:     hidden_global_offset_z
      - .offset:         96
        .size:           2
        .value_kind:     hidden_grid_dims
    .group_segment_fixed_size: 0
    .kernarg_segment_align: 8
    .kernarg_segment_size: 288
    .language:       OpenCL C
    .language_version:
      - 2
      - 0
    .max_flat_workgroup_size: 1024
    .name:           _ZN4tsne5utils21BroadcastColumnVectorIN6thrust23THRUST_200600_302600_NS7dividesIfEEfEEvPT0_PKS6_iiT_S6_
    .private_segment_fixed_size: 0
    .sgpr_count:     10
    .sgpr_spill_count: 0
    .symbol:         _ZN4tsne5utils21BroadcastColumnVectorIN6thrust23THRUST_200600_302600_NS7dividesIfEEfEEvPT0_PKS6_iiT_S6_.kd
    .uniform_work_group_size: 1
    .uses_dynamic_stack: false
    .vgpr_count:     8
    .vgpr_spill_count: 0
    .wavefront_size: 32
  - .args:
      - .address_space:  global
        .offset:         0
        .size:           8
        .value_kind:     global_buffer
      - .actual_access:  read_only
        .address_space:  global
        .offset:         8
        .size:           8
        .value_kind:     global_buffer
      - .offset:         16
        .size:           4
        .value_kind:     by_value
      - .offset:         20
        .size:           4
        .value_kind:     by_value
      - .offset:         24
        .size:           1
        .value_kind:     by_value
      - .offset:         28
        .size:           4
        .value_kind:     by_value
      - .offset:         32
        .size:           4
        .value_kind:     hidden_block_count_x
      - .offset:         36
        .size:           4
        .value_kind:     hidden_block_count_y
      - .offset:         40
        .size:           4
        .value_kind:     hidden_block_count_z
      - .offset:         44
        .size:           2
        .value_kind:     hidden_group_size_x
      - .offset:         46
        .size:           2
        .value_kind:     hidden_group_size_y
      - .offset:         48
        .size:           2
        .value_kind:     hidden_group_size_z
      - .offset:         50
        .size:           2
        .value_kind:     hidden_remainder_x
      - .offset:         52
        .size:           2
        .value_kind:     hidden_remainder_y
      - .offset:         54
        .size:           2
        .value_kind:     hidden_remainder_z
      - .offset:         72
        .size:           8
        .value_kind:     hidden_global_offset_x
      - .offset:         80
        .size:           8
        .value_kind:     hidden_global_offset_y
      - .offset:         88
        .size:           8
        .value_kind:     hidden_global_offset_z
      - .offset:         96
        .size:           2
        .value_kind:     hidden_grid_dims
    .group_segment_fixed_size: 0
    .kernarg_segment_align: 8
    .kernarg_segment_size: 288
    .language:       OpenCL C
    .language_version:
      - 2
      - 0
    .max_flat_workgroup_size: 1024
    .name:           _ZN4tsne5utils21BroadcastColumnVectorIN6thrust23THRUST_200600_302600_NS5minusIfEEfEEvPT0_PKS6_iiT_S6_
    .private_segment_fixed_size: 0
    .sgpr_count:     10
    .sgpr_spill_count: 0
    .symbol:         _ZN4tsne5utils21BroadcastColumnVectorIN6thrust23THRUST_200600_302600_NS5minusIfEEfEEvPT0_PKS6_iiT_S6_.kd
    .uniform_work_group_size: 1
    .uses_dynamic_stack: false
    .vgpr_count:     5
    .vgpr_spill_count: 0
    .wavefront_size: 32
  - .args:
      - .address_space:  global
        .offset:         0
        .size:           8
        .value_kind:     global_buffer
      - .actual_access:  read_only
        .address_space:  global
        .offset:         8
        .size:           8
        .value_kind:     global_buffer
      - .offset:         16
        .size:           4
        .value_kind:     by_value
      - .offset:         20
        .size:           4
        .value_kind:     by_value
      - .offset:         24
        .size:           1
        .value_kind:     by_value
      - .offset:         32
        .size:           8
        .value_kind:     by_value
      - .offset:         40
        .size:           4
        .value_kind:     hidden_block_count_x
      - .offset:         44
        .size:           4
        .value_kind:     hidden_block_count_y
      - .offset:         48
        .size:           4
        .value_kind:     hidden_block_count_z
      - .offset:         52
        .size:           2
        .value_kind:     hidden_group_size_x
      - .offset:         54
        .size:           2
        .value_kind:     hidden_group_size_y
      - .offset:         56
        .size:           2
        .value_kind:     hidden_group_size_z
      - .offset:         58
        .size:           2
        .value_kind:     hidden_remainder_x
      - .offset:         60
        .size:           2
        .value_kind:     hidden_remainder_y
      - .offset:         62
        .size:           2
        .value_kind:     hidden_remainder_z
      - .offset:         80
        .size:           8
        .value_kind:     hidden_global_offset_x
      - .offset:         88
        .size:           8
        .value_kind:     hidden_global_offset_y
      - .offset:         96
        .size:           8
        .value_kind:     hidden_global_offset_z
      - .offset:         104
        .size:           2
        .value_kind:     hidden_grid_dims
    .group_segment_fixed_size: 0
    .kernarg_segment_align: 8
    .kernarg_segment_size: 296
    .language:       OpenCL C
    .language_version:
      - 2
      - 0
    .max_flat_workgroup_size: 1024
    .name:           _ZN4tsne5utils21BroadcastColumnVectorIN6thrust23THRUST_200600_302600_NS10multipliesINS3_7complexIfEEEES6_EEvPT0_PKS8_iiT_S8_
    .private_segment_fixed_size: 0
    .sgpr_count:     10
    .sgpr_spill_count: 0
    .symbol:         _ZN4tsne5utils21BroadcastColumnVectorIN6thrust23THRUST_200600_302600_NS10multipliesINS3_7complexIfEEEES6_EEvPT0_PKS8_iiT_S8_.kd
    .uniform_work_group_size: 1
    .uses_dynamic_stack: false
    .vgpr_count:     10
    .vgpr_spill_count: 0
    .wavefront_size: 32
amdhsa.target:   amdgcn-amd-amdhsa--gfx1250
amdhsa.version:
  - 1
  - 2
...

	.end_amdgpu_metadata
